;; amdgpu-corpus repo=ROCm/rocFFT kind=compiled arch=gfx1030 opt=O3
	.text
	.amdgcn_target "amdgcn-amd-amdhsa--gfx1030"
	.amdhsa_code_object_version 6
	.protected	fft_rtc_fwd_len125_factors_5_5_5_wgs_500_tpt_25_dim3_sp_op_CI_CI_sbcc_twdbase8_3step_dirReg ; -- Begin function fft_rtc_fwd_len125_factors_5_5_5_wgs_500_tpt_25_dim3_sp_op_CI_CI_sbcc_twdbase8_3step_dirReg
	.globl	fft_rtc_fwd_len125_factors_5_5_5_wgs_500_tpt_25_dim3_sp_op_CI_CI_sbcc_twdbase8_3step_dirReg
	.p2align	8
	.type	fft_rtc_fwd_len125_factors_5_5_5_wgs_500_tpt_25_dim3_sp_op_CI_CI_sbcc_twdbase8_3step_dirReg,@function
fft_rtc_fwd_len125_factors_5_5_5_wgs_500_tpt_25_dim3_sp_op_CI_CI_sbcc_twdbase8_3step_dirReg: ; @fft_rtc_fwd_len125_factors_5_5_5_wgs_500_tpt_25_dim3_sp_op_CI_CI_sbcc_twdbase8_3step_dirReg
; %bb.0:
	s_load_dwordx2 s[0:1], s[4:5], 0x10
	s_waitcnt lgkmcnt(0)
	s_load_dwordx2 s[8:9], s[0:1], 0x8
	s_waitcnt lgkmcnt(0)
	s_add_u32 s2, s8, -1
	s_addc_u32 s3, s9, -1
	s_add_u32 s7, 0, 0xcccc3000
	s_addc_u32 s10, 0, 44
	s_mul_hi_u32 s12, s7, 0xffffffec
	s_add_i32 s10, s10, 0xccccca0
	s_sub_i32 s12, s12, s7
	s_mul_i32 s14, s10, 0xffffffec
	s_mul_i32 s11, s7, 0xffffffec
	s_add_i32 s12, s12, s14
	s_mul_hi_u32 s13, s7, s11
	s_mul_i32 s16, s7, s12
	s_mul_hi_u32 s14, s7, s12
	s_mul_hi_u32 s15, s10, s11
	s_mul_i32 s11, s10, s11
	s_add_u32 s13, s13, s16
	s_addc_u32 s14, 0, s14
	s_mul_hi_u32 s17, s10, s12
	s_add_u32 s11, s13, s11
	s_mul_i32 s12, s10, s12
	s_addc_u32 s11, s14, s15
	s_addc_u32 s13, s17, 0
	s_add_u32 s11, s11, s12
	v_add_co_u32 v1, s7, s7, s11
	s_addc_u32 s11, 0, s13
	s_cmp_lg_u32 s7, 0
	s_addc_u32 s7, s10, s11
	v_readfirstlane_b32 s10, v1
	s_mul_i32 s12, s2, s7
	s_mul_hi_u32 s11, s2, s7
	s_mul_hi_u32 s13, s3, s7
	s_mul_i32 s7, s3, s7
	s_mul_hi_u32 s14, s2, s10
	s_mul_hi_u32 s15, s3, s10
	s_mul_i32 s10, s3, s10
	s_add_u32 s12, s14, s12
	s_addc_u32 s11, 0, s11
	s_add_u32 s10, s12, s10
	s_addc_u32 s10, s11, s15
	s_addc_u32 s11, s13, 0
	s_add_u32 s10, s10, s7
	s_addc_u32 s11, 0, s11
	s_mul_i32 s12, s10, 20
	s_add_u32 s7, s10, 1
	v_sub_co_u32 v1, s2, s2, s12
	s_mul_hi_u32 s12, s10, 20
	s_addc_u32 s13, s11, 0
	s_mul_i32 s14, s11, 20
	v_sub_co_u32 v2, s15, v1, 20
	s_add_u32 s16, s10, 2
	s_addc_u32 s17, s11, 0
	s_add_i32 s12, s12, s14
	s_cmp_lg_u32 s2, 0
	v_readfirstlane_b32 s2, v2
	s_subb_u32 s3, s3, s12
	s_cmp_lg_u32 s15, 0
	s_subb_u32 s12, s3, 0
	s_cmp_gt_u32 s2, 19
	s_cselect_b32 s2, -1, 0
	s_cmp_eq_u32 s12, 0
	v_readfirstlane_b32 s12, v1
	s_cselect_b32 s2, s2, -1
	s_cmp_lg_u32 s2, 0
	s_cselect_b32 s2, s16, s7
	s_cselect_b32 s13, s17, s13
	s_cmp_gt_u32 s12, 19
	s_cselect_b32 s7, -1, 0
	s_cmp_eq_u32 s3, 0
	s_cselect_b32 s3, s7, -1
	s_mov_b32 s7, 0
	s_cmp_lg_u32 s3, 0
	s_cselect_b32 s2, s2, s10
	s_cselect_b32 s3, s13, s11
	s_add_u32 s10, s2, 1
	s_addc_u32 s11, s3, 0
	s_mov_b64 s[12:13], 0
	v_cmp_lt_u64_e64 s2, s[6:7], s[10:11]
	s_and_b32 vcc_lo, exec_lo, s2
	s_cbranch_vccnz .LBB0_2
; %bb.1:
	v_cvt_f32_u32_e32 v1, s10
	s_sub_i32 s3, 0, s10
	v_rcp_iflag_f32_e32 v1, v1
	v_mul_f32_e32 v1, 0x4f7ffffe, v1
	v_cvt_u32_f32_e32 v1, v1
	v_readfirstlane_b32 s2, v1
	s_mul_i32 s3, s3, s2
	s_mul_hi_u32 s3, s2, s3
	s_add_i32 s2, s2, s3
	s_mul_hi_u32 s2, s6, s2
	s_mul_i32 s3, s2, s10
	s_add_i32 s12, s2, 1
	s_sub_i32 s3, s6, s3
	s_sub_i32 s13, s3, s10
	s_cmp_ge_u32 s3, s10
	s_cselect_b32 s2, s12, s2
	s_cselect_b32 s3, s13, s3
	s_add_i32 s12, s2, 1
	s_cmp_ge_u32 s3, s10
	s_mov_b32 s13, s7
	s_cselect_b32 s12, s12, s2
.LBB0_2:
	s_load_dwordx2 s[14:15], s[0:1], 0x10
	s_waitcnt lgkmcnt(0)
	v_cmp_lt_u64_e64 s0, s[12:13], s[14:15]
	s_and_b32 vcc_lo, exec_lo, s0
	s_mov_b64 s[0:1], s[12:13]
	s_cbranch_vccnz .LBB0_4
; %bb.3:
	v_cvt_f32_u32_e32 v1, s14
	s_sub_i32 s1, 0, s14
	v_rcp_iflag_f32_e32 v1, v1
	v_mul_f32_e32 v1, 0x4f7ffffe, v1
	v_cvt_u32_f32_e32 v1, v1
	v_readfirstlane_b32 s0, v1
	s_mul_i32 s1, s1, s0
	s_mul_hi_u32 s1, s0, s1
	s_add_i32 s0, s0, s1
	s_mul_hi_u32 s0, s12, s0
	s_mul_i32 s0, s0, s14
	s_sub_i32 s0, s12, s0
	s_sub_i32 s1, s0, s14
	s_cmp_ge_u32 s0, s14
	s_cselect_b32 s0, s1, s0
	s_sub_i32 s1, s0, s14
	s_cmp_ge_u32 s0, s14
	s_cselect_b32 s0, s1, s0
.LBB0_4:
	s_clause 0x1
	s_load_dwordx2 s[18:19], s[4:5], 0x20
	s_load_dwordx2 s[2:3], s[4:5], 0x0
	s_mul_i32 s1, s14, s11
	s_mul_hi_u32 s13, s14, s10
	s_mul_i32 s14, s14, s10
	s_add_i32 s1, s13, s1
	s_mul_i32 s13, s15, s10
	s_mov_b64 s[16:17], 0
	s_add_i32 s15, s1, s13
	v_cmp_lt_u64_e64 s1, s[6:7], s[14:15]
	s_and_b32 vcc_lo, exec_lo, s1
	s_cbranch_vccnz .LBB0_6
; %bb.5:
	v_cvt_f32_u32_e32 v1, s14
	s_sub_i32 s7, 0, s14
	v_rcp_iflag_f32_e32 v1, v1
	v_mul_f32_e32 v1, 0x4f7ffffe, v1
	v_cvt_u32_f32_e32 v1, v1
	v_readfirstlane_b32 s1, v1
	s_mul_i32 s7, s7, s1
	s_mul_hi_u32 s7, s1, s7
	s_add_i32 s1, s1, s7
	s_mul_hi_u32 s1, s6, s1
	s_mul_i32 s7, s1, s14
	s_add_i32 s13, s1, 1
	s_sub_i32 s7, s6, s7
	s_sub_i32 s15, s7, s14
	s_cmp_ge_u32 s7, s14
	s_cselect_b32 s1, s13, s1
	s_cselect_b32 s7, s15, s7
	s_add_i32 s13, s1, 1
	s_cmp_ge_u32 s7, s14
	s_cselect_b32 s16, s13, s1
.LBB0_6:
	v_mul_u32_u24_e32 v1, 0xccd, v0
	s_mul_i32 s1, s12, s11
	s_mul_hi_u32 s7, s12, s10
	s_mul_i32 s10, s12, s10
	s_add_i32 s7, s7, s1
	v_lshrrev_b32_e32 v13, 16, v1
	s_sub_u32 s1, s6, s10
	s_subb_u32 s6, 0, s7
	s_mul_hi_u32 s7, s1, 20
	s_mul_i32 s6, s6, 20
	v_mul_lo_u16 v1, v13, 20
	s_mul_i32 s1, s1, 20
	s_add_i32 s17, s7, s6
                                        ; implicit-def: $vgpr7
                                        ; implicit-def: $vgpr5
                                        ; implicit-def: $vgpr9
                                        ; implicit-def: $vgpr11
                                        ; implicit-def: $vgpr3
	v_sub_nc_u16 v1, v0, v1
	v_and_b32_e32 v12, 0xffff, v1
	v_add_co_u32 v1, s6, s1, v12
	v_add_co_ci_u32_e64 v2, null, s17, 0, s6
	s_add_u32 s6, s1, 20
	s_addc_u32 s7, s17, 0
	v_cmp_le_u64_e64 s6, s[6:7], s[8:9]
	v_cmp_gt_u64_e32 vcc_lo, s[8:9], v[1:2]
                                        ; kill: def $vgpr2 killed $sgpr0 killed $exec
	s_or_b32 s20, s6, vcc_lo
	s_and_saveexec_b32 s21, s20
	s_cbranch_execz .LBB0_8
; %bb.7:
	s_load_dwordx2 s[6:7], s[4:5], 0x18
	v_add_nc_u32_e32 v19, 25, v13
	v_add_nc_u32_e32 v20, 50, v13
	;; [unrolled: 1-line block ×4, first 2 shown]
	s_waitcnt lgkmcnt(0)
	s_load_dwordx8 s[8:15], s[6:7], 0x0
	s_load_dwordx2 s[6:7], s[4:5], 0x58
	s_waitcnt lgkmcnt(0)
	v_mad_u64_u32 v[2:3], null, s10, v12, 0
	v_mad_u64_u32 v[4:5], null, s8, v13, 0
	v_mad_u64_u32 v[6:7], null, s8, v19, 0
	v_mad_u64_u32 v[8:9], null, s8, v20, 0
	v_mad_u64_u32 v[10:11], null, s8, v21, 0
	v_mad_u64_u32 v[16:17], null, s11, v12, v[3:4]
	s_mul_i32 s15, s15, s16
	s_mul_hi_u32 s23, s14, s16
	v_mad_u64_u32 v[17:18], null, s9, v13, v[5:6]
	s_mul_i32 s25, s10, s17
	s_mul_hi_u32 s26, s10, s1
	s_mul_i32 s14, s14, s16
	s_add_i32 s15, s23, s15
	s_mul_i32 s13, s13, s0
	s_mul_hi_u32 s24, s12, s0
	s_mul_i32 s27, s11, s1
	v_mad_u64_u32 v[14:15], null, s8, v22, 0
	s_add_i32 s8, s26, s25
	v_mad_u64_u32 v[18:19], null, s9, v19, v[7:8]
	v_mov_b32_e32 v3, v16
	s_lshl_b64 s[14:15], s[14:15], 3
	s_mul_i32 s12, s12, s0
	s_add_i32 s13, s24, s13
	s_add_i32 s23, s8, s27
	s_add_u32 s8, s6, s14
	v_mad_u64_u32 v[19:20], null, s9, v20, v[9:10]
	s_mul_i32 s22, s10, s1
	s_addc_u32 s10, s7, s15
	s_lshl_b64 s[6:7], s[12:13], 3
	v_mov_b32_e32 v5, v17
	v_lshlrev_b64 v[2:3], 3, v[2:3]
	s_add_u32 s8, s8, s6
	s_addc_u32 s10, s10, s7
	s_lshl_b64 s[6:7], s[22:23], 3
	v_mad_u64_u32 v[20:21], null, s9, v21, v[11:12]
	v_mov_b32_e32 v7, v18
	s_add_u32 s6, s8, s6
	v_lshlrev_b64 v[4:5], 3, v[4:5]
	s_addc_u32 s7, s10, s7
	v_mov_b32_e32 v9, v19
	v_add_co_u32 v18, vcc_lo, s6, v2
	v_lshlrev_b64 v[6:7], 3, v[6:7]
	v_add_co_ci_u32_e32 v19, vcc_lo, s7, v3, vcc_lo
	v_mad_u64_u32 v[15:16], null, s9, v22, v[15:16]
	v_mov_b32_e32 v11, v20
	v_lshlrev_b64 v[2:3], 3, v[8:9]
	v_add_co_u32 v4, vcc_lo, v18, v4
	v_add_co_ci_u32_e32 v5, vcc_lo, v19, v5, vcc_lo
	v_add_co_u32 v6, vcc_lo, v18, v6
	v_add_co_ci_u32_e32 v7, vcc_lo, v19, v7, vcc_lo
	v_lshlrev_b64 v[8:9], 3, v[10:11]
	v_add_co_u32 v16, vcc_lo, v18, v2
	v_add_co_ci_u32_e32 v17, vcc_lo, v19, v3, vcc_lo
	v_lshlrev_b64 v[2:3], 3, v[14:15]
	v_add_co_u32 v14, vcc_lo, v18, v8
	v_add_co_ci_u32_e32 v15, vcc_lo, v19, v9, vcc_lo
	v_add_co_u32 v18, vcc_lo, v18, v2
	v_add_co_ci_u32_e32 v19, vcc_lo, v19, v3, vcc_lo
	s_clause 0x4
	global_load_dwordx2 v[2:3], v[4:5], off
	global_load_dwordx2 v[10:11], v[6:7], off
	;; [unrolled: 1-line block ×5, first 2 shown]
.LBB0_8:
	s_or_b32 exec_lo, exec_lo, s21
	s_waitcnt vmcnt(1)
	v_add_f32_e32 v14, v4, v8
	s_waitcnt vmcnt(0)
	v_add_f32_e32 v21, v6, v10
	v_add_f32_e32 v15, v10, v2
	v_sub_f32_e32 v17, v9, v5
	v_sub_f32_e32 v18, v10, v8
	v_fma_f32 v14, -0.5, v14, v2
	v_sub_f32_e32 v20, v6, v4
	v_fmac_f32_e32 v2, -0.5, v21
	v_sub_f32_e32 v19, v11, v7
	v_sub_f32_e32 v22, v8, v10
	v_add_f32_e32 v15, v8, v15
	v_sub_f32_e32 v23, v4, v6
	v_add_f32_e32 v21, v20, v18
	v_fmamk_f32 v18, v17, 0xbf737871, v2
	v_fmac_f32_e32 v2, 0x3f737871, v17
	v_fmamk_f32 v16, v19, 0x3f737871, v14
	v_add_f32_e32 v15, v4, v15
	v_fmac_f32_e32 v14, 0xbf737871, v19
	v_fmac_f32_e32 v18, 0x3f167918, v19
	v_add_f32_e32 v22, v23, v22
	v_add_f32_e32 v23, v11, v3
	v_fmac_f32_e32 v2, 0xbf167918, v19
	v_fmac_f32_e32 v16, 0x3f167918, v17
	v_add_f32_e32 v24, v5, v9
	v_add_f32_e32 v20, v6, v15
	v_fmac_f32_e32 v14, 0xbf167918, v17
	v_sub_f32_e32 v6, v10, v6
	v_fmac_f32_e32 v18, 0x3e9e377a, v22
	v_add_f32_e32 v10, v9, v23
	v_add_f32_e32 v23, v7, v11
	v_fmac_f32_e32 v2, 0x3e9e377a, v22
	v_mul_lo_u16 v22, v13, 52
	v_fmac_f32_e32 v16, 0x3e9e377a, v21
	v_fma_f32 v15, -0.5, v24, v3
	v_fmac_f32_e32 v14, 0x3e9e377a, v21
	v_sub_f32_e32 v4, v8, v4
	v_sub_f32_e32 v8, v11, v9
	;; [unrolled: 1-line block ×3, first 2 shown]
	v_add_f32_e32 v10, v5, v10
	v_fmac_f32_e32 v3, -0.5, v23
	v_sub_f32_e32 v9, v9, v11
	v_lshrrev_b16 v11, 8, v22
	v_fmamk_f32 v17, v6, 0xbf737871, v15
	v_add_f32_e32 v8, v21, v8
	v_add_f32_e32 v21, v7, v10
	v_fmamk_f32 v19, v4, 0x3f737871, v3
	v_sub_f32_e32 v5, v5, v7
	v_fmac_f32_e32 v3, 0xbf737871, v4
	v_mul_lo_u16 v7, v11, 5
	v_fmac_f32_e32 v17, 0xbf167918, v4
	v_fmac_f32_e32 v15, 0x3f737871, v6
	;; [unrolled: 1-line block ×3, first 2 shown]
	v_add_f32_e32 v5, v5, v9
	v_mul_u32_u24_e32 v9, 0x320, v13
	v_lshlrev_b32_e32 v22, 3, v12
	v_fmac_f32_e32 v3, 0x3f167918, v6
	v_sub_nc_u16 v6, v13, v7
	v_fmac_f32_e32 v17, 0x3e9e377a, v8
	v_fmac_f32_e32 v15, 0x3f167918, v4
	v_add3_u32 v23, 0, v9, v22
	v_fmac_f32_e32 v19, 0x3e9e377a, v5
	v_and_b32_e32 v24, 0xff, v6
	v_fmac_f32_e32 v3, 0x3e9e377a, v5
	v_fmac_f32_e32 v15, 0x3e9e377a, v8
	s_waitcnt lgkmcnt(0)
	s_load_dwordx8 s[8:15], s[18:19], 0x0
	ds_write2_b64 v23, v[20:21], v[16:17] offset1:20
	ds_write2_b64 v23, v[18:19], v[2:3] offset0:40 offset1:60
	v_lshlrev_b32_e32 v2, 5, v24
	ds_write_b64 v23, v[14:15] offset:640
	s_waitcnt lgkmcnt(0)
	s_barrier
	buffer_gl0_inv
	s_clause 0x1
	global_load_dwordx4 v[3:6], v2, s[2:3]
	global_load_dwordx4 v[7:10], v2, s[2:3] offset:16
	v_mad_i32_i24 v2, 0xfffffd80, v13, v23
	v_and_b32_e32 v11, 0xffff, v11
	ds_read_b64 v[14:15], v2 offset:4000
	ds_read_b64 v[16:17], v2 offset:8000
	;; [unrolled: 1-line block ×3, first 2 shown]
	v_mad_u32_u24 v11, v11, 25, v24
	ds_read_b64 v[20:21], v2 offset:16000
	v_mul_u32_u24_e32 v11, 0xa0, v11
	v_add3_u32 v11, 0, v11, v22
	ds_read2_b32 v[22:23], v2 offset1:1
	s_waitcnt vmcnt(0) lgkmcnt(0)
	s_barrier
	buffer_gl0_inv
	v_add_nc_u32_e32 v24, 0x400, v11
	v_mul_f32_e32 v25, v4, v15
	v_mul_f32_e32 v4, v4, v14
	;; [unrolled: 1-line block ×8, first 2 shown]
	v_fma_f32 v14, v3, v14, -v25
	v_fmac_f32_e32 v4, v3, v15
	v_fma_f32 v3, v5, v16, -v26
	v_fmac_f32_e32 v6, v5, v17
	;; [unrolled: 2-line block ×3, first 2 shown]
	v_fmac_f32_e32 v10, v9, v21
	v_fma_f32 v9, v9, v20, -v28
	v_add_f32_e32 v7, v14, v22
	v_add_f32_e32 v15, v3, v5
	;; [unrolled: 1-line block ×6, first 2 shown]
	v_sub_f32_e32 v16, v4, v10
	v_sub_f32_e32 v17, v6, v8
	v_sub_f32_e32 v18, v14, v3
	v_sub_f32_e32 v19, v9, v5
	v_sub_f32_e32 v21, v3, v14
	v_sub_f32_e32 v25, v5, v9
	v_sub_f32_e32 v14, v14, v9
	v_sub_f32_e32 v28, v3, v5
	v_sub_f32_e32 v29, v4, v6
	v_sub_f32_e32 v32, v6, v4
	v_add_f32_e32 v7, v7, v3
	v_fma_f32 v3, -0.5, v15, v22
	v_add_f32_e32 v6, v26, v6
	v_fma_f32 v4, -0.5, v27, v23
	v_fma_f32 v22, -0.5, v20, v22
	v_fmac_f32_e32 v23, -0.5, v31
	v_sub_f32_e32 v30, v10, v8
	v_add_f32_e32 v15, v18, v19
	v_add_f32_e32 v18, v21, v25
	;; [unrolled: 1-line block ×3, first 2 shown]
	v_fmamk_f32 v5, v16, 0x3f737871, v3
	v_add_f32_e32 v25, v6, v8
	v_fmamk_f32 v6, v14, 0xbf737871, v4
	v_sub_f32_e32 v33, v8, v10
	v_fmamk_f32 v7, v17, 0xbf737871, v22
	v_fmac_f32_e32 v22, 0x3f737871, v17
	v_fmamk_f32 v8, v28, 0x3f737871, v23
	v_fmac_f32_e32 v23, 0xbf737871, v28
	v_fmac_f32_e32 v3, 0xbf737871, v16
	;; [unrolled: 1-line block ×3, first 2 shown]
	v_add_f32_e32 v19, v29, v30
	v_fmac_f32_e32 v5, 0x3f167918, v17
	v_fmac_f32_e32 v6, 0xbf167918, v28
	v_add_f32_e32 v20, v32, v33
	v_fmac_f32_e32 v7, 0x3f167918, v16
	v_fmac_f32_e32 v22, 0xbf167918, v16
	;; [unrolled: 1-line block ×6, first 2 shown]
	v_add_f32_e32 v9, v21, v9
	v_add_f32_e32 v10, v25, v10
	v_fmac_f32_e32 v5, 0x3e9e377a, v15
	v_fmac_f32_e32 v6, 0x3e9e377a, v19
	;; [unrolled: 1-line block ×8, first 2 shown]
	ds_write2_b64 v11, v[9:10], v[5:6] offset1:100
	ds_write2_b64 v24, v[7:8], v[22:23] offset0:72 offset1:172
	ds_write_b64 v11, v[3:4] offset:3200
	s_waitcnt lgkmcnt(0)
	s_barrier
	buffer_gl0_inv
	s_and_saveexec_b32 s6, s20
	s_cbranch_execz .LBB0_10
; %bb.9:
	v_mul_lo_u16 v3, v13, 21
	v_mov_b32_e32 v24, 0x20d
	s_mul_i32 s6, s13, s0
	s_mul_hi_u32 s7, s12, s0
	s_mul_i32 s0, s12, s0
	v_lshrrev_b16 v3, 9, v3
	v_mul_u32_u24_sdwa v0, v0, v24 dst_sel:DWORD dst_unused:UNUSED_PAD src0_sel:WORD_0 src1_sel:DWORD
	s_mul_i32 s12, s10, s17
	v_mov_b32_e32 v29, 3
	s_mul_i32 s13, s11, s1
	v_mul_lo_u16 v3, v3, 25
	v_lshrrev_b32_e32 v0, 18, v0
	v_sub_nc_u16 v3, v13, v3
	v_mad_u64_u32 v[13:14], null, s10, v12, 0
	v_mul_lo_u16 v0, 0x7d, v0
	v_and_b32_e32 v23, 0xff, v3
	v_mov_b32_e32 v11, v14
	v_lshlrev_b32_e32 v7, 5, v23
	v_mul_lo_u32 v24, v1, v23
	v_add_nc_u32_e32 v25, 0x64, v23
	v_add_nc_u32_sdwa v53, v23, v0 dst_sel:DWORD dst_unused:UNUSED_PAD src0_sel:DWORD src1_sel:WORD_0
	v_mad_u64_u32 v[11:12], null, s11, v12, v[11:12]
	s_clause 0x1
	global_load_dwordx4 v[3:6], v7, s[2:3] offset:160
	global_load_dwordx4 v[7:10], v7, s[2:3] offset:176
	s_mul_i32 s3, s15, s16
	s_mul_hi_u32 s15, s14, s16
	s_mul_i32 s2, s14, s16
	s_clause 0x1
	s_load_dwordx2 s[16:17], s[4:5], 0x60
	s_load_dwordx2 s[4:5], s[4:5], 0x8
	v_mov_b32_e32 v14, v11
	v_bfe_u32 v26, v24, 16, 8
	v_bfe_u32 v0, v24, 8, 8
	ds_read_b64 v[15:16], v2 offset:8000
	ds_read_b64 v[17:18], v2 offset:12000
	;; [unrolled: 1-line block ×3, first 2 shown]
	ds_read2_b32 v[21:22], v2 offset1:1
	v_add_nc_u32_e32 v27, 0x4b, v23
	v_lshlrev_b64 v[11:12], 3, v[13:14]
	v_lshl_or_b32 v13, v26, 3, 0x1000
	v_add_nc_u32_e32 v28, 50, v23
	v_add_nc_u32_e32 v30, 25, v23
	v_lshlrev_b32_sdwa v23, v29, v24 dst_sel:DWORD dst_unused:UNUSED_PAD src0_sel:DWORD src1_sel:BYTE_0
	v_lshl_or_b32 v0, v0, 3, 0x800
	v_mul_lo_u32 v31, v1, v25
	v_mul_lo_u32 v49, v1, v27
	s_waitcnt lgkmcnt(0)
	s_clause 0x2
	global_load_dwordx2 v[13:14], v13, s[4:5]
	global_load_dwordx2 v[23:24], v23, s[4:5]
	;; [unrolled: 1-line block ×3, first 2 shown]
	v_mul_lo_u32 v50, v1, v28
	v_mul_lo_u32 v51, v1, v30
	v_bfe_u32 v30, v31, 16, 8
	v_lshlrev_b32_sdwa v32, v29, v31 dst_sel:DWORD dst_unused:UNUSED_PAD src0_sel:DWORD src1_sel:BYTE_0
	v_bfe_u32 v31, v31, 8, 8
	v_lshlrev_b32_sdwa v35, v29, v49 dst_sel:DWORD dst_unused:UNUSED_PAD src0_sel:DWORD src1_sel:BYTE_0
	v_bfe_u32 v33, v49, 8, 8
	v_add_nc_u32_e32 v52, 25, v53
	v_lshlrev_b32_sdwa v39, v29, v50 dst_sel:DWORD dst_unused:UNUSED_PAD src0_sel:DWORD src1_sel:BYTE_0
	v_bfe_u32 v34, v50, 8, 8
	v_lshlrev_b32_sdwa v43, v29, v51 dst_sel:DWORD dst_unused:UNUSED_PAD src0_sel:DWORD src1_sel:BYTE_0
	v_lshl_or_b32 v29, v30, 3, 0x1000
	v_lshl_or_b32 v37, v31, 3, 0x800
	v_mad_u64_u32 v[0:1], null, s8, v53, 0
	v_bfe_u32 v36, v51, 8, 8
	s_mul_hi_u32 s14, s10, s1
	v_lshl_or_b32 v38, v33, 3, 0x800
	v_lshl_or_b32 v41, v34, 3, 0x800
	s_clause 0x2
	global_load_dwordx2 v[29:30], v29, s[4:5]
	global_load_dwordx2 v[31:32], v32, s[4:5]
	;; [unrolled: 1-line block ×3, first 2 shown]
	s_add_i32 s3, s15, s3
	s_add_i32 s11, s14, s12
	v_add_nc_u32_e32 v55, 0x4b, v53
	v_mad_u64_u32 v[27:28], null, s8, v52, 0
	s_lshl_b64 s[2:3], s[2:3], 3
	s_mul_i32 s10, s10, s1
	s_add_i32 s1, s7, s6
	s_add_i32 s11, s11, s13
	v_lshl_or_b32 v45, v36, 3, 0x800
	s_add_u32 s2, s16, s2
	s_clause 0x5
	global_load_dwordx2 v[35:36], v35, s[4:5]
	global_load_dwordx2 v[37:38], v38, s[4:5]
	;; [unrolled: 1-line block ×6, first 2 shown]
	s_addc_u32 s3, s17, s3
	s_lshl_b64 s[0:1], s[0:1], 3
	v_add_nc_u32_e32 v54, 50, v53
	s_add_u32 s2, s2, s0
	s_addc_u32 s3, s3, s1
	s_lshl_b64 s[0:1], s[10:11], 3
	s_add_u32 s0, s2, s0
	s_addc_u32 s1, s3, s1
	v_add_co_u32 v60, vcc_lo, s0, v11
	v_add_co_ci_u32_e32 v61, vcc_lo, s1, v12, vcc_lo
	v_mad_u64_u32 v[47:48], null, s8, v54, 0
	s_waitcnt vmcnt(13)
	v_mul_f32_e32 v56, v6, v15
	v_mul_f32_e32 v6, v6, v16
	;; [unrolled: 1-line block ×4, first 2 shown]
	v_fmac_f32_e32 v56, v5, v16
	v_fma_f32 v59, v5, v15, -v6
	v_fmac_f32_e32 v57, v3, v20
	v_fma_f32 v58, v3, v19, -v58
	v_bfe_u32 v3, v49, 16, 8
	v_bfe_u32 v6, v50, 16, 8
	;; [unrolled: 1-line block ×3, first 2 shown]
	v_mad_u64_u32 v[4:5], null, s8, v55, 0
	v_mad_u64_u32 v[15:16], null, s9, v53, v[1:2]
	v_lshl_or_b32 v16, v3, 3, 0x1000
	v_lshl_or_b32 v49, v6, 3, 0x1000
	;; [unrolled: 1-line block ×3, first 2 shown]
	v_mov_b32_e32 v3, v28
	v_mov_b32_e32 v6, v48
	;; [unrolled: 1-line block ×3, first 2 shown]
	s_clause 0x1
	global_load_dwordx2 v[15:16], v16, s[4:5]
	global_load_dwordx2 v[49:50], v49, s[4:5]
	v_mad_u64_u32 v[11:12], null, s9, v52, v[3:4]
	global_load_dwordx2 v[51:52], v51, s[4:5]
	s_waitcnt vmcnt(15)
	v_mad_u64_u32 v[19:20], null, s9, v54, v[6:7]
	v_mad_u64_u32 v[5:6], null, s9, v55, v[5:6]
	v_add_nc_u32_e32 v6, 0x64, v53
	v_mov_b32_e32 v28, v11
	v_lshlrev_b64 v[0:1], 3, v[0:1]
	v_sub_f32_e32 v55, v59, v58
	v_mov_b32_e32 v48, v19
	v_mad_u64_u32 v[11:12], null, s8, v6, 0
	v_add_co_u32 v0, vcc_lo, v60, v0
	v_add_co_ci_u32_e32 v1, vcc_lo, v61, v1, vcc_lo
	v_mov_b32_e32 v3, v12
	v_mad_u64_u32 v[19:20], null, s9, v6, v[3:4]
	ds_read_b64 v[2:3], v2 offset:16000
	v_mul_f32_e32 v6, v8, v18
	v_lshlrev_b64 v[4:5], 3, v[4:5]
	v_mov_b32_e32 v12, v19
	v_lshlrev_b64 v[19:20], 3, v[27:28]
	v_lshlrev_b64 v[27:28], 3, v[47:48]
	v_mul_f32_e32 v48, v8, v17
	v_lshlrev_b64 v[11:12], 3, v[11:12]
	v_add_co_u32 v19, vcc_lo, v60, v19
	v_fmac_f32_e32 v48, v7, v18
	s_waitcnt vmcnt(12)
	v_mul_f32_e32 v18, v23, v26
	v_add_co_ci_u32_e32 v20, vcc_lo, v61, v20, vcc_lo
	v_add_co_u32 v27, vcc_lo, v60, v27
	s_waitcnt lgkmcnt(0)
	v_mul_f32_e32 v47, v10, v2
	v_mul_f32_e32 v8, v10, v3
	v_fmac_f32_e32 v18, v24, v25
	v_add_co_ci_u32_e32 v28, vcc_lo, v61, v28, vcc_lo
	v_fmac_f32_e32 v47, v9, v3
	v_fma_f32 v3, v7, v17, -v6
	v_mul_f32_e32 v17, v24, v26
	v_sub_f32_e32 v24, v56, v57
	v_fma_f32 v2, v9, v2, -v8
	v_sub_f32_e32 v8, v57, v56
	v_sub_f32_e32 v9, v47, v48
	v_fma_f32 v17, v23, v25, -v17
	v_sub_f32_e32 v25, v48, v47
	v_add_co_u32 v4, vcc_lo, v60, v4
	v_add_co_ci_u32_e32 v5, vcc_lo, v61, v5, vcc_lo
	v_add_co_u32 v6, vcc_lo, v60, v11
	v_add_f32_e32 v11, v56, v48
	v_add_f32_e32 v24, v24, v25
	;; [unrolled: 1-line block ×4, first 2 shown]
	v_sub_f32_e32 v9, v3, v2
	v_sub_f32_e32 v26, v58, v59
	;; [unrolled: 1-line block ×3, first 2 shown]
	v_add_f32_e32 v54, v59, v3
	v_sub_f32_e32 v23, v57, v47
	v_add_f32_e32 v57, v22, v57
	v_fma_f32 v60, -0.5, v11, v22
	v_fma_f32 v22, -0.5, v25, v22
	s_waitcnt vmcnt(9)
	v_mul_f32_e32 v25, v32, v34
	v_mul_f32_e32 v34, v31, v34
	v_add_co_ci_u32_e32 v7, vcc_lo, v61, v12, vcc_lo
	v_sub_f32_e32 v12, v58, v2
	v_add_f32_e32 v9, v55, v9
	v_add_f32_e32 v55, v58, v2
	;; [unrolled: 1-line block ×4, first 2 shown]
	v_sub_f32_e32 v53, v56, v48
	v_fma_f32 v54, -0.5, v54, v21
	v_add_f32_e32 v11, v57, v56
	s_waitcnt vmcnt(7)
	v_mul_f32_e32 v56, v36, v38
	v_mul_f32_e32 v38, v35, v38
	v_fma_f32 v25, v31, v33, -v25
	v_fmac_f32_e32 v34, v32, v33
	s_waitcnt vmcnt(3)
	v_mul_f32_e32 v33, v44, v46
	v_sub_f32_e32 v10, v59, v3
	v_fma_f32 v21, -0.5, v55, v21
	v_add_f32_e32 v55, v58, v59
	v_mul_f32_e32 v31, v40, v42
	v_mul_f32_e32 v32, v39, v42
	;; [unrolled: 1-line block ×3, first 2 shown]
	v_fma_f32 v35, v35, v37, -v56
	v_fmac_f32_e32 v38, v36, v37
	v_fmamk_f32 v36, v12, 0x3f737871, v60
	v_fmamk_f32 v37, v23, 0xbf737871, v54
	v_fmac_f32_e32 v60, 0xbf737871, v12
	v_fmac_f32_e32 v54, 0x3f737871, v23
	v_fma_f32 v33, v43, v45, -v33
	v_fmamk_f32 v46, v10, 0xbf737871, v22
	v_fmamk_f32 v56, v53, 0x3f737871, v21
	v_fmac_f32_e32 v22, 0x3f737871, v10
	v_fmac_f32_e32 v21, 0xbf737871, v53
	v_add_f32_e32 v11, v11, v48
	v_add_f32_e32 v3, v55, v3
	v_fma_f32 v31, v39, v41, -v31
	v_mul_f32_e32 v39, v18, v14
	v_mul_f32_e32 v14, v17, v14
	v_fmac_f32_e32 v32, v40, v41
	v_fmac_f32_e32 v42, v44, v45
	;; [unrolled: 1-line block ×7, first 2 shown]
	v_add_f32_e32 v10, v11, v47
	v_add_f32_e32 v2, v3, v2
	v_mul_f32_e32 v3, v34, v30
	v_mul_f32_e32 v11, v25, v30
	v_fmac_f32_e32 v37, 0xbf167918, v53
	v_fmac_f32_e32 v46, 0x3f167918, v12
	;; [unrolled: 1-line block ×13, first 2 shown]
	v_fma_f32 v17, v13, v17, -v39
	v_fma_f32 v8, v29, v25, -v3
	v_mul_f32_e32 v3, v2, v14
	v_mul_f32_e32 v14, v10, v14
	;; [unrolled: 1-line block ×4, first 2 shown]
	v_fmac_f32_e32 v3, v10, v17
	v_fma_f32 v2, v2, v17, -v14
	v_fmac_f32_e32 v9, v36, v8
	v_fma_f32 v8, v37, v8, -v24
	s_waitcnt vmcnt(2)
	v_mul_f32_e32 v12, v38, v16
	s_waitcnt vmcnt(1)
	v_mul_f32_e32 v30, v31, v50
	v_mul_f32_e32 v16, v35, v16
	;; [unrolled: 1-line block ×3, first 2 shown]
	s_waitcnt vmcnt(0)
	v_mul_f32_e32 v41, v33, v52
	v_mul_f32_e32 v40, v42, v52
	v_fmac_f32_e32 v30, v49, v32
	v_fmac_f32_e32 v16, v15, v38
	v_fma_f32 v18, v15, v35, -v12
	v_fmac_f32_e32 v41, v51, v42
	v_fma_f32 v12, v49, v31, -v23
	v_fma_f32 v23, v51, v33, -v40
	v_mul_f32_e32 v13, v21, v30
	v_mul_f32_e32 v25, v22, v30
	;; [unrolled: 1-line block ×6, first 2 shown]
	v_fmac_f32_e32 v13, v22, v12
	v_fmac_f32_e32 v15, v60, v23
	v_fma_f32 v14, v54, v23, -v26
	v_fma_f32 v12, v21, v12, -v25
	v_fmac_f32_e32 v11, v46, v18
	v_fma_f32 v10, v56, v18, -v16
	global_store_dwordx2 v[0:1], v[2:3], off
	global_store_dwordx2 v[19:20], v[14:15], off
	;; [unrolled: 1-line block ×5, first 2 shown]
.LBB0_10:
	s_endpgm
	.section	.rodata,"a",@progbits
	.p2align	6, 0x0
	.amdhsa_kernel fft_rtc_fwd_len125_factors_5_5_5_wgs_500_tpt_25_dim3_sp_op_CI_CI_sbcc_twdbase8_3step_dirReg
		.amdhsa_group_segment_fixed_size 0
		.amdhsa_private_segment_fixed_size 0
		.amdhsa_kernarg_size 104
		.amdhsa_user_sgpr_count 6
		.amdhsa_user_sgpr_private_segment_buffer 1
		.amdhsa_user_sgpr_dispatch_ptr 0
		.amdhsa_user_sgpr_queue_ptr 0
		.amdhsa_user_sgpr_kernarg_segment_ptr 1
		.amdhsa_user_sgpr_dispatch_id 0
		.amdhsa_user_sgpr_flat_scratch_init 0
		.amdhsa_user_sgpr_private_segment_size 0
		.amdhsa_wavefront_size32 1
		.amdhsa_uses_dynamic_stack 0
		.amdhsa_system_sgpr_private_segment_wavefront_offset 0
		.amdhsa_system_sgpr_workgroup_id_x 1
		.amdhsa_system_sgpr_workgroup_id_y 0
		.amdhsa_system_sgpr_workgroup_id_z 0
		.amdhsa_system_sgpr_workgroup_info 0
		.amdhsa_system_vgpr_workitem_id 0
		.amdhsa_next_free_vgpr 62
		.amdhsa_next_free_sgpr 28
		.amdhsa_reserve_vcc 1
		.amdhsa_reserve_flat_scratch 0
		.amdhsa_float_round_mode_32 0
		.amdhsa_float_round_mode_16_64 0
		.amdhsa_float_denorm_mode_32 3
		.amdhsa_float_denorm_mode_16_64 3
		.amdhsa_dx10_clamp 1
		.amdhsa_ieee_mode 1
		.amdhsa_fp16_overflow 0
		.amdhsa_workgroup_processor_mode 1
		.amdhsa_memory_ordered 1
		.amdhsa_forward_progress 0
		.amdhsa_shared_vgpr_count 0
		.amdhsa_exception_fp_ieee_invalid_op 0
		.amdhsa_exception_fp_denorm_src 0
		.amdhsa_exception_fp_ieee_div_zero 0
		.amdhsa_exception_fp_ieee_overflow 0
		.amdhsa_exception_fp_ieee_underflow 0
		.amdhsa_exception_fp_ieee_inexact 0
		.amdhsa_exception_int_div_zero 0
	.end_amdhsa_kernel
	.text
.Lfunc_end0:
	.size	fft_rtc_fwd_len125_factors_5_5_5_wgs_500_tpt_25_dim3_sp_op_CI_CI_sbcc_twdbase8_3step_dirReg, .Lfunc_end0-fft_rtc_fwd_len125_factors_5_5_5_wgs_500_tpt_25_dim3_sp_op_CI_CI_sbcc_twdbase8_3step_dirReg
                                        ; -- End function
	.section	.AMDGPU.csdata,"",@progbits
; Kernel info:
; codeLenInByte = 4096
; NumSgprs: 30
; NumVgprs: 62
; ScratchSize: 0
; MemoryBound: 0
; FloatMode: 240
; IeeeMode: 1
; LDSByteSize: 0 bytes/workgroup (compile time only)
; SGPRBlocks: 3
; VGPRBlocks: 7
; NumSGPRsForWavesPerEU: 30
; NumVGPRsForWavesPerEU: 62
; Occupancy: 16
; WaveLimiterHint : 1
; COMPUTE_PGM_RSRC2:SCRATCH_EN: 0
; COMPUTE_PGM_RSRC2:USER_SGPR: 6
; COMPUTE_PGM_RSRC2:TRAP_HANDLER: 0
; COMPUTE_PGM_RSRC2:TGID_X_EN: 1
; COMPUTE_PGM_RSRC2:TGID_Y_EN: 0
; COMPUTE_PGM_RSRC2:TGID_Z_EN: 0
; COMPUTE_PGM_RSRC2:TIDIG_COMP_CNT: 0
	.text
	.p2alignl 6, 3214868480
	.fill 48, 4, 3214868480
	.type	__hip_cuid_59651258a7c287a,@object ; @__hip_cuid_59651258a7c287a
	.section	.bss,"aw",@nobits
	.globl	__hip_cuid_59651258a7c287a
__hip_cuid_59651258a7c287a:
	.byte	0                               ; 0x0
	.size	__hip_cuid_59651258a7c287a, 1

	.ident	"AMD clang version 19.0.0git (https://github.com/RadeonOpenCompute/llvm-project roc-6.4.0 25133 c7fe45cf4b819c5991fe208aaa96edf142730f1d)"
	.section	".note.GNU-stack","",@progbits
	.addrsig
	.addrsig_sym __hip_cuid_59651258a7c287a
	.amdgpu_metadata
---
amdhsa.kernels:
  - .args:
      - .actual_access:  read_only
        .address_space:  global
        .offset:         0
        .size:           8
        .value_kind:     global_buffer
      - .address_space:  global
        .offset:         8
        .size:           8
        .value_kind:     global_buffer
      - .actual_access:  read_only
        .address_space:  global
        .offset:         16
        .size:           8
        .value_kind:     global_buffer
      - .actual_access:  read_only
        .address_space:  global
        .offset:         24
        .size:           8
        .value_kind:     global_buffer
      - .actual_access:  read_only
        .address_space:  global
        .offset:         32
        .size:           8
        .value_kind:     global_buffer
      - .offset:         40
        .size:           8
        .value_kind:     by_value
      - .actual_access:  read_only
        .address_space:  global
        .offset:         48
        .size:           8
        .value_kind:     global_buffer
      - .actual_access:  read_only
        .address_space:  global
        .offset:         56
        .size:           8
        .value_kind:     global_buffer
      - .offset:         64
        .size:           4
        .value_kind:     by_value
      - .actual_access:  read_only
        .address_space:  global
        .offset:         72
        .size:           8
        .value_kind:     global_buffer
      - .actual_access:  read_only
        .address_space:  global
        .offset:         80
        .size:           8
        .value_kind:     global_buffer
      - .actual_access:  read_only
        .address_space:  global
        .offset:         88
        .size:           8
        .value_kind:     global_buffer
      - .actual_access:  write_only
        .address_space:  global
        .offset:         96
        .size:           8
        .value_kind:     global_buffer
    .group_segment_fixed_size: 0
    .kernarg_segment_align: 8
    .kernarg_segment_size: 104
    .language:       OpenCL C
    .language_version:
      - 2
      - 0
    .max_flat_workgroup_size: 500
    .name:           fft_rtc_fwd_len125_factors_5_5_5_wgs_500_tpt_25_dim3_sp_op_CI_CI_sbcc_twdbase8_3step_dirReg
    .private_segment_fixed_size: 0
    .sgpr_count:     30
    .sgpr_spill_count: 0
    .symbol:         fft_rtc_fwd_len125_factors_5_5_5_wgs_500_tpt_25_dim3_sp_op_CI_CI_sbcc_twdbase8_3step_dirReg.kd
    .uniform_work_group_size: 1
    .uses_dynamic_stack: false
    .vgpr_count:     62
    .vgpr_spill_count: 0
    .wavefront_size: 32
    .workgroup_processor_mode: 1
amdhsa.target:   amdgcn-amd-amdhsa--gfx1030
amdhsa.version:
  - 1
  - 2
...

	.end_amdgpu_metadata
